;; amdgpu-corpus repo=ROCm/rocFFT kind=compiled arch=gfx1201 opt=O3
	.text
	.amdgcn_target "amdgcn-amd-amdhsa--gfx1201"
	.amdhsa_code_object_version 6
	.protected	fft_rtc_back_len280_factors_8_5_7_wgs_392_tpt_56_sp_op_CI_CI_sbcc_twdbase5_3step_dirReg_intrinsicRead ; -- Begin function fft_rtc_back_len280_factors_8_5_7_wgs_392_tpt_56_sp_op_CI_CI_sbcc_twdbase5_3step_dirReg_intrinsicRead
	.globl	fft_rtc_back_len280_factors_8_5_7_wgs_392_tpt_56_sp_op_CI_CI_sbcc_twdbase5_3step_dirReg_intrinsicRead
	.p2align	8
	.type	fft_rtc_back_len280_factors_8_5_7_wgs_392_tpt_56_sp_op_CI_CI_sbcc_twdbase5_3step_dirReg_intrinsicRead,@function
fft_rtc_back_len280_factors_8_5_7_wgs_392_tpt_56_sp_op_CI_CI_sbcc_twdbase5_3step_dirReg_intrinsicRead: ; @fft_rtc_back_len280_factors_8_5_7_wgs_392_tpt_56_sp_op_CI_CI_sbcc_twdbase5_3step_dirReg_intrinsicRead
; %bb.0:
	s_clause 0x1
	s_load_b256 s[4:11], s[0:1], 0x8
	s_load_b64 s[24:25], s[0:1], 0x28
	s_mov_b32 s30, ttmp9
	s_mov_b32 s2, exec_lo
	v_cmpx_gt_u32_e32 0x60, v0
	s_cbranch_execz .LBB0_2
; %bb.1:
	v_lshlrev_b32_e32 v3, 3, v0
	s_wait_kmcnt 0x0
	global_load_b64 v[1:2], v3, s[4:5]
	v_add_nc_u32_e32 v3, 0, v3
	s_wait_loadcnt 0x0
	ds_store_b64 v3, v[1:2] offset:15680
.LBB0_2:
	s_or_b32 exec_lo, exec_lo, s2
	s_mov_b32 s31, 0
	s_mov_b32 s2, 0x92481000
	s_movk_i32 s3, 0x64
	s_wait_kmcnt 0x0
	s_mov_b32 s4, s31
	s_mov_b32 s5, s31
	s_load_b64 s[28:29], s[8:9], 0x8
	s_add_nc_u64 s[2:3], s[4:5], s[2:3]
	s_mov_b32 s15, s31
	s_add_co_i32 s3, s3, 0x249248c0
	s_mov_b64 s[20:21], 0
	s_mul_u64 s[4:5], s[2:3], -7
	s_delay_alu instid0(SALU_CYCLE_1)
	s_mul_hi_u32 s13, s2, s5
	s_mul_i32 s12, s2, s5
	s_mul_hi_u32 s14, s2, s4
	s_mul_hi_u32 s16, s3, s4
	s_mul_i32 s4, s3, s4
	s_add_nc_u64 s[12:13], s[14:15], s[12:13]
	s_mul_hi_u32 s14, s3, s5
	s_add_co_u32 s4, s12, s4
	s_add_co_ci_u32 s4, s13, s16
	s_add_co_ci_u32 s13, s14, 0
	s_mul_i32 s12, s3, s5
	s_mov_b32 s5, s31
	s_delay_alu instid0(SALU_CYCLE_1) | instskip(SKIP_3) | instid1(VALU_DEP_1)
	s_add_nc_u64 s[4:5], s[4:5], s[12:13]
	s_wait_kmcnt 0x0
	s_add_nc_u64 s[12:13], s[28:29], -1
	v_add_co_u32 v1, s2, s2, s4
	s_cmp_lg_u32 s2, 0
	s_add_co_ci_u32 s15, s3, s5
	s_delay_alu instid0(VALU_DEP_1) | instskip(SKIP_3) | instid1(VALU_DEP_1)
	v_readfirstlane_b32 s14, v1
	s_mul_hi_u32 s3, s12, s15
	s_mul_i32 s2, s12, s15
	s_mov_b32 s5, s31
	s_mul_hi_u32 s4, s12, s14
	s_wait_alu 0xfffe
	s_add_nc_u64 s[2:3], s[4:5], s[2:3]
	s_mul_i32 s5, s13, s14
	s_mul_hi_u32 s14, s13, s14
	s_mul_hi_u32 s4, s13, s15
	s_wait_alu 0xfffe
	s_add_co_u32 s2, s2, s5
	s_add_co_ci_u32 s2, s3, s14
	s_add_co_ci_u32 s5, s4, 0
	s_mul_i32 s4, s13, s15
	s_mov_b32 s3, s31
	s_wait_alu 0xfffe
	s_add_nc_u64 s[2:3], s[2:3], s[4:5]
	s_wait_alu 0xfffe
	s_mul_u64 s[4:5], s[2:3], 7
	s_wait_alu 0xfffe
	v_sub_co_u32 v1, s4, s12, s4
	s_delay_alu instid0(VALU_DEP_1) | instskip(SKIP_1) | instid1(VALU_DEP_1)
	s_cmp_lg_u32 s4, 0
	s_sub_co_ci_u32 s14, s13, s5
	v_sub_co_u32 v2, s12, v1, 7
	s_delay_alu instid0(VALU_DEP_1) | instskip(SKIP_2) | instid1(VALU_DEP_2)
	s_cmp_lg_u32 s12, 0
	v_readfirstlane_b32 s16, v1
	s_sub_co_ci_u32 s12, s14, 0
	v_readfirstlane_b32 s4, v2
	s_delay_alu instid0(VALU_DEP_1)
	s_cmp_gt_u32 s4, 6
	s_add_nc_u64 s[4:5], s[2:3], 1
	s_cselect_b32 s15, -1, 0
	s_wait_alu 0xfffe
	s_cmp_eq_u32 s12, 0
	s_add_nc_u64 s[12:13], s[2:3], 2
	s_cselect_b32 s15, s15, -1
	s_delay_alu instid0(SALU_CYCLE_1)
	s_cmp_lg_u32 s15, 0
	s_wait_alu 0xfffe
	s_cselect_b32 s4, s12, s4
	s_cselect_b32 s5, s13, s5
	s_cmp_gt_u32 s16, 6
	s_cselect_b32 s12, -1, 0
	s_cmp_eq_u32 s14, 0
	s_wait_alu 0xfffe
	s_cselect_b32 s12, s12, -1
	s_wait_alu 0xfffe
	s_cmp_lg_u32 s12, 0
	s_cselect_b32 s3, s5, s3
	s_cselect_b32 s2, s4, s2
	s_wait_alu 0xfffe
	s_add_nc_u64 s[4:5], s[2:3], 1
	s_wait_alu 0xfffe
	v_cmp_lt_u64_e64 s2, s[30:31], s[4:5]
	s_delay_alu instid0(VALU_DEP_1)
	s_and_b32 vcc_lo, exec_lo, s2
	s_cbranch_vccnz .LBB0_4
; %bb.3:
	v_cvt_f32_u32_e32 v1, s4
	s_sub_co_i32 s3, 0, s4
	s_mov_b32 s21, s31
	s_delay_alu instid0(VALU_DEP_1) | instskip(NEXT) | instid1(TRANS32_DEP_1)
	v_rcp_iflag_f32_e32 v1, v1
	v_mul_f32_e32 v1, 0x4f7ffffe, v1
	s_delay_alu instid0(VALU_DEP_1) | instskip(NEXT) | instid1(VALU_DEP_1)
	v_cvt_u32_f32_e32 v1, v1
	v_readfirstlane_b32 s2, v1
	s_wait_alu 0xfffe
	s_delay_alu instid0(VALU_DEP_1)
	s_mul_i32 s3, s3, s2
	s_wait_alu 0xfffe
	s_mul_hi_u32 s3, s2, s3
	s_wait_alu 0xfffe
	s_add_co_i32 s2, s2, s3
	s_wait_alu 0xfffe
	s_mul_hi_u32 s2, s30, s2
	s_wait_alu 0xfffe
	s_mul_i32 s3, s2, s4
	s_add_co_i32 s12, s2, 1
	s_wait_alu 0xfffe
	s_sub_co_i32 s3, s30, s3
	s_wait_alu 0xfffe
	s_sub_co_i32 s13, s3, s4
	s_cmp_ge_u32 s3, s4
	s_cselect_b32 s2, s12, s2
	s_wait_alu 0xfffe
	s_cselect_b32 s3, s13, s3
	s_add_co_i32 s12, s2, 1
	s_wait_alu 0xfffe
	s_cmp_ge_u32 s3, s4
	s_cselect_b32 s20, s12, s2
.LBB0_4:
	s_load_b128 s[16:19], s[10:11], 0x0
	s_load_b128 s[12:15], s[24:25], 0x0
	s_clause 0x1
	s_load_b64 s[26:27], s[0:1], 0x60
	s_load_b64 s[22:23], s[0:1], 0x0
	s_wait_kmcnt 0x0
	v_cmp_lt_u64_e64 s17, s[6:7], 3
	s_mul_u64 s[2:3], s[20:21], s[4:5]
	s_wait_alu 0xfffe
	s_sub_nc_u64 s[2:3], s[30:31], s[2:3]
	s_wait_alu 0xfffe
	s_mul_u64 s[36:37], s[2:3], 7
	s_and_b32 vcc_lo, exec_lo, s17
	s_mul_u64 s[34:35], s[18:19], s[36:37]
	s_mul_u64 s[2:3], s[14:15], s[36:37]
	s_cbranch_vccnz .LBB0_14
; %bb.5:
	s_add_nc_u64 s[38:39], s[24:25], 16
	s_add_nc_u64 s[40:41], s[10:11], 16
	;; [unrolled: 1-line block ×3, first 2 shown]
	s_mov_b64 s[42:43], 2
	s_mov_b32 s44, 0
.LBB0_6:                                ; =>This Inner Loop Header: Depth=1
	s_load_b64 s[46:47], s[8:9], 0x0
                                        ; implicit-def: $sgpr50_sgpr51
	s_wait_kmcnt 0x0
	s_or_b64 s[48:49], s[20:21], s[46:47]
	s_delay_alu instid0(SALU_CYCLE_1)
	s_mov_b32 s45, s49
	s_mov_b32 s49, -1
	s_cmp_lg_u64 s[44:45], 0
	s_cbranch_scc0 .LBB0_8
; %bb.7:                                ;   in Loop: Header=BB0_6 Depth=1
	s_cvt_f32_u32 s17, s46
	s_cvt_f32_u32 s33, s47
	s_sub_nc_u64 s[52:53], 0, s[46:47]
	s_mov_b32 s49, 0
	s_mov_b32 s57, s44
	s_wait_alu 0xfffe
	s_fmamk_f32 s17, s33, 0x4f800000, s17
	s_wait_alu 0xfffe
	s_delay_alu instid0(SALU_CYCLE_2) | instskip(NEXT) | instid1(TRANS32_DEP_1)
	v_s_rcp_f32 s17, s17
	s_mul_f32 s17, s17, 0x5f7ffffc
	s_wait_alu 0xfffe
	s_delay_alu instid0(SALU_CYCLE_2) | instskip(NEXT) | instid1(SALU_CYCLE_3)
	s_mul_f32 s33, s17, 0x2f800000
	s_trunc_f32 s33, s33
	s_delay_alu instid0(SALU_CYCLE_3) | instskip(SKIP_2) | instid1(SALU_CYCLE_1)
	s_fmamk_f32 s17, s33, 0xcf800000, s17
	s_cvt_u32_f32 s51, s33
	s_wait_alu 0xfffe
	s_cvt_u32_f32 s50, s17
	s_wait_alu 0xfffe
	s_delay_alu instid0(SALU_CYCLE_2)
	s_mul_u64 s[54:55], s[52:53], s[50:51]
	s_wait_alu 0xfffe
	s_mul_hi_u32 s59, s50, s55
	s_mul_i32 s58, s50, s55
	s_mul_hi_u32 s48, s50, s54
	s_mul_i32 s33, s51, s54
	s_add_nc_u64 s[58:59], s[48:49], s[58:59]
	s_mul_hi_u32 s17, s51, s54
	s_mul_hi_u32 s45, s51, s55
	s_add_co_u32 s33, s58, s33
	s_wait_alu 0xfffe
	s_add_co_ci_u32 s56, s59, s17
	s_mul_i32 s54, s51, s55
	s_add_co_ci_u32 s55, s45, 0
	s_wait_alu 0xfffe
	s_add_nc_u64 s[54:55], s[56:57], s[54:55]
	s_wait_alu 0xfffe
	v_add_co_u32 v1, s17, s50, s54
	s_delay_alu instid0(VALU_DEP_1) | instskip(SKIP_1) | instid1(VALU_DEP_1)
	s_cmp_lg_u32 s17, 0
	s_add_co_ci_u32 s51, s51, s55
	v_readfirstlane_b32 s50, v1
	s_mov_b32 s55, s44
	s_wait_alu 0xfffe
	s_delay_alu instid0(VALU_DEP_1)
	s_mul_u64 s[52:53], s[52:53], s[50:51]
	s_wait_alu 0xfffe
	s_mul_hi_u32 s57, s50, s53
	s_mul_i32 s56, s50, s53
	s_mul_hi_u32 s48, s50, s52
	s_mul_i32 s33, s51, s52
	s_add_nc_u64 s[56:57], s[48:49], s[56:57]
	s_mul_hi_u32 s17, s51, s52
	s_mul_hi_u32 s45, s51, s53
	s_add_co_u32 s33, s56, s33
	s_wait_alu 0xfffe
	s_add_co_ci_u32 s54, s57, s17
	s_mul_i32 s52, s51, s53
	s_add_co_ci_u32 s53, s45, 0
	s_wait_alu 0xfffe
	s_add_nc_u64 s[52:53], s[54:55], s[52:53]
	s_wait_alu 0xfffe
	v_add_co_u32 v1, s17, v1, s52
	s_delay_alu instid0(VALU_DEP_1) | instskip(SKIP_1) | instid1(VALU_DEP_1)
	s_cmp_lg_u32 s17, 0
	s_add_co_ci_u32 s17, s51, s53
	v_readfirstlane_b32 s33, v1
	s_wait_alu 0xfffe
	s_mul_hi_u32 s51, s20, s17
	s_mul_i32 s50, s20, s17
	s_mul_hi_u32 s45, s21, s17
	s_mul_i32 s52, s21, s17
	;; [unrolled: 2-line block ×3, first 2 shown]
	s_wait_alu 0xfffe
	s_add_nc_u64 s[50:51], s[48:49], s[50:51]
	s_mul_hi_u32 s33, s21, s33
	s_wait_alu 0xfffe
	s_add_co_u32 s17, s50, s17
	s_add_co_ci_u32 s54, s51, s33
	s_add_co_ci_u32 s53, s45, 0
	s_wait_alu 0xfffe
	s_add_nc_u64 s[50:51], s[54:55], s[52:53]
	s_wait_alu 0xfffe
	s_mul_u64 s[52:53], s[46:47], s[50:51]
	s_add_nc_u64 s[54:55], s[50:51], 1
	s_wait_alu 0xfffe
	v_sub_co_u32 v1, s17, s20, s52
	s_sub_co_i32 s33, s21, s53
	s_cmp_lg_u32 s17, 0
	s_add_nc_u64 s[56:57], s[50:51], 2
	s_delay_alu instid0(VALU_DEP_1) | instskip(SKIP_2) | instid1(VALU_DEP_1)
	v_sub_co_u32 v2, s45, v1, s46
	s_sub_co_ci_u32 s33, s33, s47
	s_cmp_lg_u32 s45, 0
	v_readfirstlane_b32 s45, v2
	s_sub_co_ci_u32 s33, s33, 0
	s_delay_alu instid0(SALU_CYCLE_1) | instskip(SKIP_1) | instid1(VALU_DEP_1)
	s_cmp_ge_u32 s33, s47
	s_cselect_b32 s48, -1, 0
	s_cmp_ge_u32 s45, s46
	s_cselect_b32 s45, -1, 0
	s_cmp_eq_u32 s33, s47
	s_cselect_b32 s33, s45, s48
	s_delay_alu instid0(SALU_CYCLE_1)
	s_cmp_lg_u32 s33, 0
	s_cselect_b32 s33, s56, s54
	s_cselect_b32 s45, s57, s55
	s_cmp_lg_u32 s17, 0
	v_readfirstlane_b32 s17, v1
	s_sub_co_ci_u32 s48, s21, s53
	s_delay_alu instid0(SALU_CYCLE_1) | instskip(SKIP_1) | instid1(VALU_DEP_1)
	s_cmp_ge_u32 s48, s47
	s_cselect_b32 s52, -1, 0
	s_cmp_ge_u32 s17, s46
	s_cselect_b32 s17, -1, 0
	s_cmp_eq_u32 s48, s47
	s_wait_alu 0xfffe
	s_cselect_b32 s17, s17, s52
	s_wait_alu 0xfffe
	s_cmp_lg_u32 s17, 0
	s_cselect_b32 s51, s45, s51
	s_cselect_b32 s50, s33, s50
.LBB0_8:                                ;   in Loop: Header=BB0_6 Depth=1
	s_and_not1_b32 vcc_lo, exec_lo, s49
	s_cbranch_vccnz .LBB0_10
; %bb.9:                                ;   in Loop: Header=BB0_6 Depth=1
	v_cvt_f32_u32_e32 v1, s46
	s_sub_co_i32 s33, 0, s46
	s_mov_b32 s51, s44
	s_delay_alu instid0(VALU_DEP_1) | instskip(NEXT) | instid1(TRANS32_DEP_1)
	v_rcp_iflag_f32_e32 v1, v1
	v_mul_f32_e32 v1, 0x4f7ffffe, v1
	s_delay_alu instid0(VALU_DEP_1) | instskip(NEXT) | instid1(VALU_DEP_1)
	v_cvt_u32_f32_e32 v1, v1
	v_readfirstlane_b32 s17, v1
	s_delay_alu instid0(VALU_DEP_1) | instskip(NEXT) | instid1(SALU_CYCLE_1)
	s_mul_i32 s33, s33, s17
	s_mul_hi_u32 s33, s17, s33
	s_delay_alu instid0(SALU_CYCLE_1)
	s_add_co_i32 s17, s17, s33
	s_wait_alu 0xfffe
	s_mul_hi_u32 s17, s20, s17
	s_wait_alu 0xfffe
	s_mul_i32 s33, s17, s46
	s_add_co_i32 s45, s17, 1
	s_sub_co_i32 s33, s20, s33
	s_delay_alu instid0(SALU_CYCLE_1)
	s_sub_co_i32 s48, s33, s46
	s_cmp_ge_u32 s33, s46
	s_cselect_b32 s17, s45, s17
	s_cselect_b32 s33, s48, s33
	s_wait_alu 0xfffe
	s_add_co_i32 s45, s17, 1
	s_cmp_ge_u32 s33, s46
	s_cselect_b32 s50, s45, s17
.LBB0_10:                               ;   in Loop: Header=BB0_6 Depth=1
	s_load_b64 s[48:49], s[40:41], 0x0
	s_load_b64 s[52:53], s[38:39], 0x0
	s_add_nc_u64 s[42:43], s[42:43], 1
	s_mul_u64 s[4:5], s[46:47], s[4:5]
	s_wait_alu 0xfffe
	v_cmp_ge_u64_e64 s17, s[42:43], s[6:7]
	s_mul_u64 s[46:47], s[50:51], s[46:47]
	s_add_nc_u64 s[38:39], s[38:39], 8
	s_wait_alu 0xfffe
	s_sub_nc_u64 s[20:21], s[20:21], s[46:47]
	s_add_nc_u64 s[40:41], s[40:41], 8
	s_add_nc_u64 s[8:9], s[8:9], 8
	s_and_b32 vcc_lo, exec_lo, s17
	s_wait_kmcnt 0x0
	s_wait_alu 0xfffe
	s_mul_u64 s[46:47], s[48:49], s[20:21]
	s_mul_u64 s[20:21], s[52:53], s[20:21]
	s_wait_alu 0xfffe
	s_add_nc_u64 s[34:35], s[46:47], s[34:35]
	s_add_nc_u64 s[2:3], s[20:21], s[2:3]
	s_cbranch_vccnz .LBB0_12
; %bb.11:                               ;   in Loop: Header=BB0_6 Depth=1
	s_mov_b64 s[20:21], s[50:51]
	s_branch .LBB0_6
.LBB0_12:
	v_cmp_lt_u64_e64 s5, s[30:31], s[4:5]
	s_mov_b64 s[20:21], 0
	s_delay_alu instid0(VALU_DEP_1)
	s_and_b32 vcc_lo, exec_lo, s5
	s_cbranch_vccnz .LBB0_14
; %bb.13:
	v_cvt_f32_u32_e32 v1, s4
	s_sub_co_i32 s8, 0, s4
	s_mov_b32 s21, 0
	s_delay_alu instid0(VALU_DEP_1) | instskip(NEXT) | instid1(TRANS32_DEP_1)
	v_rcp_iflag_f32_e32 v1, v1
	v_mul_f32_e32 v1, 0x4f7ffffe, v1
	s_delay_alu instid0(VALU_DEP_1) | instskip(NEXT) | instid1(VALU_DEP_1)
	v_cvt_u32_f32_e32 v1, v1
	v_readfirstlane_b32 s5, v1
	s_delay_alu instid0(VALU_DEP_1) | instskip(NEXT) | instid1(SALU_CYCLE_1)
	s_mul_i32 s8, s8, s5
	s_mul_hi_u32 s8, s5, s8
	s_delay_alu instid0(SALU_CYCLE_1)
	s_add_co_i32 s5, s5, s8
	s_wait_alu 0xfffe
	s_mul_hi_u32 s5, s30, s5
	s_wait_alu 0xfffe
	s_mul_i32 s8, s5, s4
	s_add_co_i32 s9, s5, 1
	s_sub_co_i32 s8, s30, s8
	s_delay_alu instid0(SALU_CYCLE_1)
	s_sub_co_i32 s17, s8, s4
	s_cmp_ge_u32 s8, s4
	s_cselect_b32 s5, s9, s5
	s_wait_alu 0xfffe
	s_cselect_b32 s8, s17, s8
	s_add_co_i32 s9, s5, 1
	s_cmp_ge_u32 s8, s4
	s_cselect_b32 s20, s9, s5
.LBB0_14:
	v_mul_hi_u32 v19, 0x24924925, v0
	s_load_b64 s[4:5], s[0:1], 0x68
	v_cmp_gt_u32_e32 vcc_lo, 0xf5, v0
	s_lshl_b64 s[6:7], s[6:7], 3
	s_add_nc_u64 s[8:9], s[36:37], 7
	s_wait_alu 0xfffe
	s_add_nc_u64 s[30:31], s[10:11], s[6:7]
	v_cmp_le_u64_e64 s10, s[8:9], s[28:29]
	s_load_b64 s[8:9], s[30:31], 0x0
	v_mul_u32_u24_e32 v1, 7, v19
	v_cmp_lt_u32_e64 s0, 0xf4, v0
	s_delay_alu instid0(VALU_DEP_2) | instskip(SKIP_1) | instid1(VALU_DEP_3)
	v_sub_nc_u32_e32 v20, v0, v1
	v_cndmask_b32_e64 v1, 0, 1, vcc_lo
	s_or_b32 s0, s0, s10
	s_delay_alu instid0(VALU_DEP_2) | instskip(NEXT) | instid1(VALU_DEP_1)
	v_add_co_u32 v3, s1, s36, v20
	v_add_co_ci_u32_e64 v4, null, s37, 0, s1
	v_mad_co_u64_u32 v[6:7], null, s18, v20, 0
	s_delay_alu instid0(VALU_DEP_2)
	v_cmp_gt_u64_e32 vcc_lo, s[28:29], v[3:4]
	s_wait_kmcnt 0x0
	s_mul_u64 s[8:9], s[8:9], s[20:21]
	s_wait_alu 0xfffe
	s_add_nc_u64 s[8:9], s[8:9], s[34:35]
	s_wait_alu 0xfffd
	v_cndmask_b32_e64 v2, 0, 1, vcc_lo
	s_delay_alu instid0(VALU_DEP_1) | instskip(SKIP_1) | instid1(VALU_DEP_2)
	v_cndmask_b32_e64 v2, v2, v1, s0
	v_mov_b32_e32 v1, v7
	v_dual_mov_b32 v2, 0 :: v_dual_and_b32 v7, 1, v2
	s_delay_alu instid0(VALU_DEP_1) | instskip(SKIP_1) | instid1(VALU_DEP_3)
	v_mad_co_u64_u32 v[4:5], null, s19, v20, v[1:2]
	v_dual_mov_b32 v4, 0 :: v_dual_mov_b32 v5, 0
	v_cmp_eq_u32_e64 s0, 1, v7
	s_delay_alu instid0(VALU_DEP_1)
	s_and_saveexec_b32 s9, s0
	s_cbranch_execz .LBB0_16
; %bb.15:
	v_mul_lo_u32 v1, s16, v19
	v_mov_b32_e32 v5, 0
	s_wait_alu 0xfffe
	s_delay_alu instid0(VALU_DEP_2) | instskip(NEXT) | instid1(VALU_DEP_1)
	v_add3_u32 v4, s8, v6, v1
	v_lshlrev_b64_e32 v[4:5], 3, v[4:5]
	s_delay_alu instid0(VALU_DEP_1) | instskip(SKIP_1) | instid1(VALU_DEP_2)
	v_add_co_u32 v4, s1, s26, v4
	s_wait_alu 0xf1ff
	v_add_co_ci_u32_e64 v5, s1, s27, v5, s1
	global_load_b64 v[4:5], v[4:5], off
.LBB0_16:
	s_wait_alu 0xfffe
	s_or_b32 exec_lo, exec_lo, s9
	v_mov_b32_e32 v1, 0
	s_and_saveexec_b32 s9, s0
	s_cbranch_execz .LBB0_18
; %bb.17:
	v_dual_mov_b32 v2, 0 :: v_dual_add_nc_u32 v1, 35, v19
	s_delay_alu instid0(VALU_DEP_1) | instskip(NEXT) | instid1(VALU_DEP_1)
	v_mul_lo_u32 v1, s16, v1
	v_add3_u32 v1, s8, v6, v1
	s_delay_alu instid0(VALU_DEP_1) | instskip(NEXT) | instid1(VALU_DEP_1)
	v_lshlrev_b64_e32 v[1:2], 3, v[1:2]
	v_add_co_u32 v1, s1, s26, v1
	s_wait_alu 0xf1ff
	s_delay_alu instid0(VALU_DEP_2)
	v_add_co_ci_u32_e64 v2, s1, s27, v2, s1
	global_load_b64 v[1:2], v[1:2], off
.LBB0_18:
	s_wait_alu 0xfffe
	s_or_b32 exec_lo, exec_lo, s9
	v_dual_mov_b32 v8, 0 :: v_dual_mov_b32 v9, 0
	v_mov_b32_e32 v10, 0
	s_and_saveexec_b32 s9, s0
	s_cbranch_execz .LBB0_20
; %bb.19:
	v_dual_mov_b32 v10, 0 :: v_dual_add_nc_u32 v7, 0x46, v19
	s_delay_alu instid0(VALU_DEP_1) | instskip(NEXT) | instid1(VALU_DEP_1)
	v_mul_lo_u32 v7, s16, v7
	v_add3_u32 v9, s8, v6, v7
	s_delay_alu instid0(VALU_DEP_1) | instskip(NEXT) | instid1(VALU_DEP_1)
	v_lshlrev_b64_e32 v[9:10], 3, v[9:10]
	v_add_co_u32 v9, s1, s26, v9
	s_wait_alu 0xf1ff
	s_delay_alu instid0(VALU_DEP_2)
	v_add_co_ci_u32_e64 v10, s1, s27, v10, s1
	global_load_b64 v[9:10], v[9:10], off
.LBB0_20:
	s_wait_alu 0xfffe
	s_or_b32 exec_lo, exec_lo, s9
	v_mov_b32_e32 v7, 0
	s_and_saveexec_b32 s9, s0
	s_cbranch_execz .LBB0_22
; %bb.21:
	v_dual_mov_b32 v8, 0 :: v_dual_add_nc_u32 v7, 0x69, v19
	s_delay_alu instid0(VALU_DEP_1) | instskip(NEXT) | instid1(VALU_DEP_1)
	v_mul_lo_u32 v7, s16, v7
	v_add3_u32 v7, s8, v6, v7
	s_delay_alu instid0(VALU_DEP_1) | instskip(NEXT) | instid1(VALU_DEP_1)
	v_lshlrev_b64_e32 v[7:8], 3, v[7:8]
	v_add_co_u32 v7, s1, s26, v7
	s_wait_alu 0xf1ff
	s_delay_alu instid0(VALU_DEP_2)
	v_add_co_ci_u32_e64 v8, s1, s27, v8, s1
	global_load_b64 v[7:8], v[7:8], off
.LBB0_22:
	s_wait_alu 0xfffe
	s_or_b32 exec_lo, exec_lo, s9
	v_dual_mov_b32 v12, 0 :: v_dual_mov_b32 v13, 0
	v_mov_b32_e32 v14, 0
	s_and_saveexec_b32 s9, s0
	s_cbranch_execz .LBB0_24
; %bb.23:
	v_dual_mov_b32 v14, 0 :: v_dual_add_nc_u32 v11, 0x8c, v19
	s_delay_alu instid0(VALU_DEP_1) | instskip(NEXT) | instid1(VALU_DEP_1)
	v_mul_lo_u32 v11, s16, v11
	v_add3_u32 v13, s8, v6, v11
	s_delay_alu instid0(VALU_DEP_1) | instskip(NEXT) | instid1(VALU_DEP_1)
	v_lshlrev_b64_e32 v[13:14], 3, v[13:14]
	v_add_co_u32 v13, s1, s26, v13
	s_wait_alu 0xf1ff
	s_delay_alu instid0(VALU_DEP_2)
	v_add_co_ci_u32_e64 v14, s1, s27, v14, s1
	global_load_b64 v[13:14], v[13:14], off
.LBB0_24:
	;; [unrolled: 37-line block ×3, first 2 shown]
	s_wait_alu 0xfffe
	s_or_b32 exec_lo, exec_lo, s9
	v_mov_b32_e32 v15, 0
	s_and_saveexec_b32 s1, s0
	s_cbranch_execz .LBB0_30
; %bb.29:
	v_dual_mov_b32 v16, 0 :: v_dual_add_nc_u32 v15, 0xf5, v19
	s_delay_alu instid0(VALU_DEP_1) | instskip(NEXT) | instid1(VALU_DEP_1)
	v_mul_lo_u32 v15, s16, v15
	v_add3_u32 v15, s8, v6, v15
	s_delay_alu instid0(VALU_DEP_1) | instskip(NEXT) | instid1(VALU_DEP_1)
	v_lshlrev_b64_e32 v[15:16], 3, v[15:16]
	v_add_co_u32 v15, s0, s26, v15
	s_wait_alu 0xf1ff
	s_delay_alu instid0(VALU_DEP_2)
	v_add_co_ci_u32_e64 v16, s0, s27, v16, s0
	global_load_b64 v[15:16], v[15:16], off
.LBB0_30:
	s_wait_alu 0xfffe
	s_or_b32 exec_lo, exec_lo, s1
	s_wait_loadcnt 0x0
	v_dual_sub_f32 v6, v4, v13 :: v_dual_sub_f32 v21, v5, v14
	v_dual_sub_f32 v17, v9, v17 :: v_dual_sub_f32 v18, v10, v18
	;; [unrolled: 1-line block ×3, first 2 shown]
	s_delay_alu instid0(VALU_DEP_3) | instskip(SKIP_1) | instid1(VALU_DEP_4)
	v_fma_f32 v14, v5, 2.0, -v21
	v_dual_sub_f32 v5, v1, v11 :: v_dual_sub_f32 v24, v2, v12
	v_fma_f32 v25, v10, 2.0, -v18
	v_add_f32_e32 v10, v6, v18
	v_fma_f32 v13, v4, 2.0, -v6
	v_fma_f32 v4, v9, 2.0, -v17
	v_sub_f32_e32 v23, v24, v15
	v_fma_f32 v9, v1, 2.0, -v5
	v_fma_f32 v11, v2, 2.0, -v24
	;; [unrolled: 1-line block ×4, first 2 shown]
	v_sub_f32_e32 v12, v21, v17
	v_fma_f32 v15, v6, 2.0, -v10
	v_add_f32_e32 v22, v5, v16
	v_dual_sub_f32 v7, v13, v4 :: v_dual_sub_f32 v16, v14, v25
	s_delay_alu instid0(VALU_DEP_4) | instskip(SKIP_1) | instid1(VALU_DEP_4)
	v_fma_f32 v17, v21, 2.0, -v12
	v_sub_f32_e32 v18, v9, v1
	v_fma_f32 v4, v5, 2.0, -v22
	v_fma_f32 v5, v24, 2.0, -v23
	v_sub_f32_e32 v21, v11, v2
	v_cmp_lt_u32_e64 s0, 0xf4, v0
	v_mul_u32_u24_e32 v6, 56, v19
	v_fmamk_f32 v1, v4, 0xbf3504f3, v15
	v_fmamk_f32 v2, v5, 0xbf3504f3, v17
	s_delay_alu instid0(VALU_DEP_4)
	s_and_saveexec_b32 s1, s0
	s_wait_alu 0xfffe
	s_xor_b32 s0, exec_lo, s1
; %bb.31:
	v_mul_u32_u24_e32 v6, 56, v19
                                        ; implicit-def: $vgpr13
                                        ; implicit-def: $vgpr14
                                        ; implicit-def: $vgpr9
                                        ; implicit-def: $vgpr11
                                        ; implicit-def: $vgpr10
                                        ; implicit-def: $vgpr12
                                        ; implicit-def: $vgpr15
                                        ; implicit-def: $vgpr17
                                        ; implicit-def: $vgpr22
                                        ; implicit-def: $vgpr23
; %bb.32:
	s_wait_alu 0xfffe
	s_or_saveexec_b32 s8, s0
	v_dual_fmac_f32 v1, 0x3f3504f3, v5 :: v_dual_lshlrev_b32 v8, 3, v20
	v_dual_fmac_f32 v2, 0xbf3504f3, v4 :: v_dual_sub_f32 v5, v16, v18
	v_add_f32_e32 v4, v7, v21
	s_add_nc_u64 s[0:1], s[24:25], s[6:7]
	s_wait_alu 0xfffe
	s_xor_b32 exec_lo, exec_lo, s8
	s_cbranch_execz .LBB0_34
; %bb.33:
	v_fma_f32 v9, v9, 2.0, -v18
	v_fmamk_f32 v24, v22, 0x3f3504f3, v10
	v_fma_f32 v14, v14, 2.0, -v16
	v_fma_f32 v21, v11, 2.0, -v21
	v_fmamk_f32 v25, v23, 0x3f3504f3, v12
	v_fma_f32 v11, v16, 2.0, -v5
	v_fmac_f32_e32 v24, 0x3f3504f3, v23
	v_fma_f32 v23, v13, 2.0, -v7
	v_fma_f32 v16, v17, 2.0, -v2
	v_fmamk_f32 v25, v22, 0xbf3504f3, v25
	v_sub_f32_e32 v22, v14, v21
	v_fma_f32 v15, v15, 2.0, -v1
	v_sub_f32_e32 v21, v23, v9
	v_lshlrev_b32_e32 v9, 3, v6
	v_fma_f32 v13, v12, 2.0, -v25
	v_fma_f32 v18, v14, 2.0, -v22
	;; [unrolled: 1-line block ×4, first 2 shown]
	v_add3_u32 v9, 0, v9, v8
	v_fma_f32 v10, v7, 2.0, -v4
	ds_store_2addr_b64 v9, v[17:18], v[15:16] offset1:7
	ds_store_2addr_b64 v9, v[10:11], v[12:13] offset0:14 offset1:21
	ds_store_2addr_b64 v9, v[21:22], v[1:2] offset0:28 offset1:35
	;; [unrolled: 1-line block ×3, first 2 shown]
.LBB0_34:
	s_or_b32 exec_lo, exec_lo, s8
	v_and_b32_e32 v7, 7, v19
	s_load_b64 s[6:7], s[0:1], 0x0
	global_wb scope:SCOPE_SE
	s_wait_dscnt 0x0
	s_wait_kmcnt 0x0
	s_barrier_signal -1
	s_barrier_wait -1
	v_lshlrev_b32_e32 v13, 5, v7
	global_inv scope:SCOPE_SE
	v_add3_u32 v16, 0, v6, v8
	v_lshrrev_b32_e32 v6, 3, v19
	v_cmp_gt_u32_e64 s0, 0x118, v0
	s_clause 0x1
	global_load_b128 v[9:12], v13, s[22:23]
	global_load_b128 v[21:24], v13, s[22:23] offset:16
	ds_load_b64 v[13:14], v16 offset:3136
	ds_load_b64 v[17:18], v16 offset:6272
	ds_load_b64 v[25:26], v16 offset:9408
	v_mul_u32_u24_e32 v6, 40, v6
	ds_load_b64 v[27:28], v16 offset:12544
	v_or_b32_e32 v6, v6, v7
	s_delay_alu instid0(VALU_DEP_1)
	v_mul_u32_u24_e32 v15, 56, v6
	ds_load_2addr_b32 v[6:7], v16 offset1:1
	global_wb scope:SCOPE_SE
	s_wait_loadcnt_dscnt 0x0
	s_barrier_signal -1
	s_barrier_wait -1
	v_add3_u32 v0, 0, v15, v8
	global_inv scope:SCOPE_SE
	v_mul_f32_e32 v8, v10, v14
	v_dual_mul_f32 v10, v10, v13 :: v_dual_mul_f32 v15, v12, v18
	v_dual_mul_f32 v12, v12, v17 :: v_dual_mul_f32 v29, v22, v26
	v_mul_f32_e32 v30, v24, v28
	s_delay_alu instid0(VALU_DEP_3) | instskip(SKIP_4) | instid1(VALU_DEP_4)
	v_dual_mul_f32 v24, v24, v27 :: v_dual_fmac_f32 v15, v11, v17
	v_fmac_f32_e32 v8, v9, v13
	v_fma_f32 v9, v9, v14, -v10
	v_fma_f32 v11, v11, v18, -v12
	v_dual_fmac_f32 v29, v21, v25 :: v_dual_fmac_f32 v30, v23, v27
	v_add_f32_e32 v10, v8, v6
	v_fma_f32 v17, v23, v28, -v24
	v_sub_f32_e32 v14, v8, v15
	s_delay_alu instid0(VALU_DEP_4)
	v_add_f32_e32 v12, v15, v29
	v_sub_f32_e32 v24, v15, v8
	v_sub_f32_e32 v31, v15, v29
	v_add_f32_e32 v15, v10, v15
	v_dual_mul_f32 v22, v22, v25 :: v_dual_add_f32 v23, v8, v30
	v_sub_f32_e32 v25, v29, v30
	v_dual_sub_f32 v28, v8, v30 :: v_dual_add_f32 v33, v9, v17
	s_delay_alu instid0(VALU_DEP_3)
	v_fma_f32 v13, v21, v26, -v22
	v_add_f32_e32 v26, v7, v9
	v_sub_f32_e32 v8, v9, v11
	v_fma_f32 v10, -0.5, v12, v6
	v_fma_f32 v6, -0.5, v23, v6
	v_add_f32_e32 v27, v11, v13
	v_sub_f32_e32 v21, v11, v13
	v_sub_f32_e32 v32, v17, v13
	;; [unrolled: 1-line block ×4, first 2 shown]
	v_dual_add_f32 v23, v24, v25 :: v_dual_add_f32 v24, v26, v11
	v_fma_f32 v11, -0.5, v27, v7
	v_sub_f32_e32 v22, v30, v29
	v_fmac_f32_e32 v7, -0.5, v33
	v_dual_sub_f32 v34, v13, v17 :: v_dual_add_f32 v25, v8, v32
	v_add_f32_e32 v8, v15, v29
	v_fmamk_f32 v12, v18, 0xbf737871, v10
	v_fmac_f32_e32 v10, 0x3f737871, v18
	v_fmamk_f32 v15, v31, 0xbf737871, v7
	v_dual_fmac_f32 v7, 0x3f737871, v31 :: v_dual_add_f32 v26, v9, v34
	v_add_f32_e32 v9, v24, v13
	v_dual_fmamk_f32 v13, v28, 0x3f737871, v11 :: v_dual_add_f32 v22, v14, v22
	v_fmamk_f32 v14, v21, 0x3f737871, v6
	v_fmac_f32_e32 v6, 0xbf737871, v21
	s_delay_alu instid0(VALU_DEP_4)
	v_add_f32_e32 v9, v9, v17
	v_fmac_f32_e32 v11, 0xbf737871, v28
	v_dual_fmac_f32 v12, 0xbf167918, v21 :: v_dual_fmac_f32 v7, 0xbf167918, v28
	v_dual_fmac_f32 v10, 0x3f167918, v21 :: v_dual_fmac_f32 v15, 0x3f167918, v28
	v_fmac_f32_e32 v14, 0xbf167918, v18
	v_dual_fmac_f32 v6, 0x3f167918, v18 :: v_dual_fmac_f32 v13, 0x3f167918, v31
	v_dual_add_f32 v8, v8, v30 :: v_dual_fmac_f32 v11, 0xbf167918, v31
	v_fmac_f32_e32 v12, 0x3e9e377a, v22
	v_fmac_f32_e32 v10, 0x3e9e377a, v22
	v_dual_fmac_f32 v14, 0x3e9e377a, v23 :: v_dual_fmac_f32 v15, 0x3e9e377a, v26
	v_dual_fmac_f32 v6, 0x3e9e377a, v23 :: v_dual_fmac_f32 v7, 0x3e9e377a, v26
	v_fmac_f32_e32 v13, 0x3e9e377a, v25
	v_fmac_f32_e32 v11, 0x3e9e377a, v25
	ds_store_2addr_b64 v0, v[8:9], v[12:13] offset1:56
	ds_store_2addr_b64 v0, v[14:15], v[6:7] offset0:112 offset1:168
	ds_store_b64 v0, v[10:11] offset:1792
	global_wb scope:SCOPE_SE
	s_wait_dscnt 0x0
	s_barrier_signal -1
	s_barrier_wait -1
	global_inv scope:SCOPE_SE
	s_and_saveexec_b32 s1, s0
	s_cbranch_execz .LBB0_36
; %bb.35:
	ds_load_b64 v[8:9], v16
	ds_load_b64 v[12:13], v16 offset:2240
	ds_load_b64 v[14:15], v16 offset:4480
	;; [unrolled: 1-line block ×6, first 2 shown]
.LBB0_36:
	s_wait_alu 0xfffe
	s_or_b32 exec_lo, exec_lo, s1
	v_mul_hi_u32 v0, 0x6666667, v19
	s_add_co_i32 s1, 0, 0x3d40
	s_mul_u64 s[6:7], s[6:7], s[20:21]
	s_wait_alu 0xfffe
	s_add_nc_u64 s[2:3], s[6:7], s[2:3]
	s_delay_alu instid0(VALU_DEP_1) | instskip(NEXT) | instid1(VALU_DEP_1)
	v_mul_u32_u24_e32 v0, 40, v0
	v_sub_nc_u32_e32 v0, v19, v0
	s_delay_alu instid0(VALU_DEP_1) | instskip(SKIP_2) | instid1(VALU_DEP_3)
	v_mul_u32_u24_e32 v16, 6, v0
	v_mul_lo_u32 v0, v0, v3
	v_mul_lo_u32 v3, v3, 40
	v_lshlrev_b32_e32 v16, 3, v16
	s_clause 0x2
	global_load_b128 v[23:26], v16, s[22:23] offset:256
	global_load_b128 v[27:30], v16, s[22:23] offset:272
	;; [unrolled: 1-line block ×3, first 2 shown]
	v_and_b32_e32 v35, 31, v0
	v_add_nc_u32_e32 v36, v0, v3
	v_lshrrev_b32_e32 v37, 2, v0
	v_lshrrev_b32_e32 v0, 7, v0
	s_delay_alu instid0(VALU_DEP_4) | instskip(NEXT) | instid1(VALU_DEP_4)
	v_lshl_add_u32 v38, v35, 3, 0
	v_add_nc_u32_e32 v35, v36, v3
	s_delay_alu instid0(VALU_DEP_4)
	v_and_b32_e32 v37, 0xf8, v37
	v_and_b32_e32 v39, 31, v36
	v_lshrrev_b32_e32 v40, 2, v36
	v_lshrrev_b32_e32 v36, 7, v36
	v_add_nc_u32_e32 v41, v35, v3
	v_add_nc_u32_e32 v42, s1, v37
	v_lshl_add_u32 v43, v39, 3, 0
	v_and_b32_e32 v37, 0xf8, v40
	v_and_b32_e32 v39, 31, v35
	v_lshrrev_b32_e32 v40, 2, v35
	v_lshrrev_b32_e32 v35, 7, v35
	v_add_nc_u32_e32 v44, v41, v3
	v_and_b32_e32 v36, 0xf8, v36
	v_add_nc_u32_e32 v37, s1, v37
	v_lshl_add_u32 v55, v39, 3, 0
	v_and_b32_e32 v39, 0xf8, v40
	v_and_b32_e32 v40, 0xf8, v35
	;; [unrolled: 1-line block ×3, first 2 shown]
	v_lshrrev_b32_e32 v46, 2, v41
	v_lshrrev_b32_e32 v41, 7, v41
	v_and_b32_e32 v47, 31, v44
	v_add_nc_u32_e32 v53, s1, v36
	ds_load_b64 v[35:36], v37 offset:256
	v_add_nc_u32_e32 v57, s1, v39
	v_add_nc_u32_e32 v59, s1, v40
	v_and_b32_e32 v37, 0xf8, v46
	v_and_b32_e32 v39, 0xf8, v41
	v_lshrrev_b32_e32 v40, 2, v44
	v_add_nc_u32_e32 v48, v44, v3
	v_lshrrev_b32_e32 v41, 7, v44
	v_lshl_add_u32 v44, v47, 3, 0
	v_add_nc_u32_e32 v46, s1, v37
	v_add_nc_u32_e32 v47, s1, v39
	v_and_b32_e32 v49, 0xf8, v40
	ds_load_b32 v71, v38 offset:15680
	ds_load_b64 v[37:38], v44 offset:15680
	ds_load_b32 v72, v44 offset:15684
	ds_load_b64 v[39:40], v42 offset:256
	v_and_b32_e32 v0, 0xf8, v0
	v_lshl_add_u32 v61, v45, 3, 0
	v_and_b32_e32 v45, 31, v48
	v_add_nc_u32_e32 v3, v48, v3
	v_and_b32_e32 v50, 0xf8, v41
	v_add_nc_u32_e32 v0, s1, v0
	ds_load_b64 v[41:42], v0 offset:512
	ds_load_b32 v0, v43 offset:15680
	v_lshl_add_u32 v45, v45, 3, 0
	v_lshrrev_b32_e32 v51, 2, v48
	v_and_b32_e32 v52, 31, v3
	ds_load_b64 v[43:44], v45 offset:15680
	ds_load_b32 v73, v45 offset:15684
	v_lshrrev_b32_e32 v48, 7, v48
	v_and_b32_e32 v56, 0xf8, v51
	v_add_nc_u32_e32 v49, s1, v49
	v_lshl_add_u32 v62, v52, 3, 0
	v_add_nc_u32_e32 v54, s1, v50
	v_and_b32_e32 v58, 0xf8, v48
	ds_load_b64 v[45:46], v46 offset:256
	ds_load_b64 v[47:48], v47 offset:512
	;; [unrolled: 1-line block ×4, first 2 shown]
	v_add_nc_u32_e32 v63, s1, v56
	ds_load_b64 v[53:54], v53 offset:512
	ds_load_b32 v74, v55 offset:15680
	ds_load_b64 v[55:56], v62 offset:15680
	v_add_nc_u32_e32 v22, 40, v19
	v_add_nc_u32_e32 v17, 0x78, v19
	v_lshrrev_b32_e32 v60, 2, v3
	v_lshrrev_b32_e32 v3, 7, v3
	s_wait_dscnt 0x9
	v_mul_f32_e32 v75, v0, v36
	v_add_nc_u32_e32 v65, s1, v58
	v_add_nc_u32_e32 v21, 0x50, v19
	v_and_b32_e32 v64, 0xf8, v60
	s_wait_dscnt 0x8
	v_dual_mul_f32 v36, v44, v36 :: v_dual_and_b32 v3, 0xf8, v3
	v_fmac_f32_e32 v75, v44, v35
	v_add_nc_u32_e32 v16, 0xc8, v19
	v_add_nc_u32_e32 v67, s1, v64
	s_delay_alu instid0(VALU_DEP_4)
	v_add_nc_u32_e32 v3, s1, v3
	v_fma_f32 v0, v0, v35, -v36
	v_dual_mul_f32 v77, v38, v40 :: v_dual_add_nc_u32 v18, 0xa0, v19
	s_wait_dscnt 0x2
	v_mul_f32_e32 v35, v75, v54
	v_mul_f32_e32 v40, v71, v40
	s_and_b32 s1, s0, s10
	s_delay_alu instid0(VALU_DEP_2) | instskip(SKIP_1) | instid1(VALU_DEP_3)
	v_fma_f32 v35, v53, v0, -v35
	v_mul_f32_e32 v0, v0, v54
	v_fmac_f32_e32 v40, v38, v39
	v_mul_f32_e32 v38, v72, v50
	s_delay_alu instid0(VALU_DEP_3)
	v_fmac_f32_e32 v0, v53, v75
	ds_load_b32 v76, v62 offset:15684
	ds_load_b64 v[57:58], v57 offset:256
	ds_load_b64 v[59:60], v59 offset:512
	;; [unrolled: 1-line block ×7, first 2 shown]
	v_fma_f32 v3, v71, v39, -v77
	v_mul_f32_e32 v39, v37, v50
	v_mul_f32_e32 v44, v40, v42
	v_fma_f32 v37, v37, v49, -v38
	s_delay_alu instid0(VALU_DEP_3) | instskip(NEXT) | instid1(VALU_DEP_3)
	v_dual_mul_f32 v42, v3, v42 :: v_dual_fmac_f32 v39, v72, v49
	v_fma_f32 v3, v41, v3, -v44
	s_delay_alu instid0(VALU_DEP_3) | instskip(NEXT) | instid1(VALU_DEP_3)
	v_mul_f32_e32 v44, v37, v52
	v_fmac_f32_e32 v42, v41, v40
	s_delay_alu instid0(VALU_DEP_4) | instskip(NEXT) | instid1(VALU_DEP_3)
	v_mul_f32_e32 v41, v39, v52
	v_fmac_f32_e32 v44, v51, v39
	s_wait_dscnt 0x6
	v_mul_f32_e32 v36, v56, v58
	v_mul_f32_e32 v50, v74, v58
	s_wait_dscnt 0x4
	v_mul_f32_e32 v58, v62, v46
	v_mul_f32_e32 v46, v61, v46
	;; [unrolled: 3-line block ×3, first 2 shown]
	v_fma_f32 v36, v74, v57, -v36
	v_fma_f32 v40, v61, v45, -v58
	v_fmac_f32_e32 v46, v62, v45
	v_fma_f32 v38, v43, v63, -v38
	s_wait_dscnt 0x1
	v_mul_f32_e32 v43, v76, v68
	v_dual_mul_f32 v45, v55, v68 :: v_dual_fmac_f32 v50, v56, v57
	v_fmac_f32_e32 v49, v73, v63
	v_mul_f32_e32 v53, v36, v60
	s_delay_alu instid0(VALU_DEP_4) | instskip(NEXT) | instid1(VALU_DEP_4)
	v_fma_f32 v43, v55, v67, -v43
	v_dual_fmac_f32 v45, v76, v67 :: v_dual_mul_f32 v52, v50, v60
	v_fma_f32 v37, v51, v37, -v41
	v_mul_f32_e32 v39, v49, v66
	v_mul_f32_e32 v41, v38, v66
	v_fmac_f32_e32 v53, v59, v50
	s_wait_dscnt 0x0
	v_mul_f32_e32 v50, v45, v70
	v_dual_mul_f32 v51, v43, v70 :: v_dual_mul_f32 v54, v46, v48
	v_mul_f32_e32 v48, v40, v48
	v_fma_f32 v38, v65, v38, -v39
	v_fmac_f32_e32 v41, v65, v49
	v_fma_f32 v39, v69, v43, -v50
	v_fmac_f32_e32 v51, v69, v45
	;; [unrolled: 2-line block ×3, first 2 shown]
	v_fma_f32 v36, v59, v36, -v52
	s_wait_loadcnt 0x2
	v_mul_f32_e32 v43, v13, v24
	v_dual_mul_f32 v24, v12, v24 :: v_dual_mul_f32 v45, v15, v26
	v_mul_f32_e32 v26, v14, v26
	s_wait_loadcnt 0x0
	v_dual_mul_f32 v49, v2, v32 :: v_dual_mul_f32 v50, v5, v34
	v_mul_f32_e32 v32, v1, v32
	v_mul_f32_e32 v34, v4, v34
	;; [unrolled: 1-line block ×3, first 2 shown]
	v_dual_mul_f32 v28, v6, v28 :: v_dual_mul_f32 v47, v11, v30
	v_mul_f32_e32 v30, v10, v30
	v_dual_fmac_f32 v50, v4, v33 :: v_dual_fmac_f32 v49, v1, v31
	v_fma_f32 v4, v5, v33, -v34
	v_fma_f32 v1, v2, v31, -v32
	v_fmac_f32_e32 v43, v12, v23
	v_fma_f32 v12, v13, v23, -v24
	v_fma_f32 v13, v15, v25, -v26
	v_fmac_f32_e32 v46, v6, v27
	v_fma_f32 v6, v7, v27, -v28
	v_fma_f32 v5, v11, v29, -v30
	v_add_f32_e32 v7, v12, v4
	v_sub_f32_e32 v4, v12, v4
	v_add_f32_e32 v12, v13, v1
	v_dual_fmac_f32 v45, v14, v25 :: v_dual_add_f32 v2, v43, v50
	v_dual_fmac_f32 v47, v10, v29 :: v_dual_sub_f32 v10, v43, v50
	s_delay_alu instid0(VALU_DEP_2)
	v_add_f32_e32 v11, v45, v49
	v_sub_f32_e32 v14, v45, v49
	v_dual_add_f32 v15, v6, v5 :: v_dual_add_f32 v24, v12, v7
	v_sub_f32_e32 v1, v13, v1
	v_add_f32_e32 v13, v46, v47
	v_dual_sub_f32 v23, v47, v46 :: v_dual_sub_f32 v26, v12, v7
	s_delay_alu instid0(VALU_DEP_4) | instskip(SKIP_1) | instid1(VALU_DEP_4)
	v_dual_sub_f32 v12, v15, v12 :: v_dual_sub_f32 v5, v5, v6
	v_add_f32_e32 v6, v11, v2
	v_dual_sub_f32 v25, v11, v2 :: v_dual_sub_f32 v2, v2, v13
	s_delay_alu instid0(VALU_DEP_3)
	v_dual_sub_f32 v7, v7, v15 :: v_dual_sub_f32 v30, v5, v1
	v_sub_f32_e32 v11, v13, v11
	v_dual_add_f32 v28, v5, v1 :: v_dual_add_f32 v27, v23, v14
	v_sub_f32_e32 v29, v23, v14
	v_dual_sub_f32 v23, v10, v23 :: v_dual_add_f32 v6, v13, v6
	v_add_f32_e32 v13, v15, v24
	v_sub_f32_e32 v5, v4, v5
	v_dual_sub_f32 v1, v1, v4 :: v_dual_mul_f32 v2, 0x3f4a47b2, v2
	v_dual_add_f32 v4, v28, v4 :: v_dual_mul_f32 v7, 0x3f4a47b2, v7
	v_add_f32_e32 v8, v8, v6
	v_mul_f32_e32 v24, 0x3d64c772, v12
	v_dual_mul_f32 v28, 0x3f08b237, v30 :: v_dual_add_f32 v9, v9, v13
	v_sub_f32_e32 v14, v14, v10
	s_delay_alu instid0(VALU_DEP_4) | instskip(NEXT) | instid1(VALU_DEP_4)
	v_fmamk_f32 v6, v6, 0xbf955555, v8
	v_fma_f32 v24, 0x3f3bfb3b, v26, -v24
	s_delay_alu instid0(VALU_DEP_4) | instskip(SKIP_3) | instid1(VALU_DEP_4)
	v_dual_add_f32 v10, v27, v10 :: v_dual_fmamk_f32 v13, v13, 0xbf955555, v9
	v_mul_f32_e32 v15, 0x3d64c772, v11
	v_mul_f32_e32 v27, 0x3f08b237, v29
	v_dual_mul_f32 v29, 0xbf5ff5aa, v14 :: v_dual_mul_f32 v30, 0xbf5ff5aa, v1
	v_dual_fmamk_f32 v11, v11, 0x3d64c772, v2 :: v_dual_add_f32 v24, v24, v13
	v_dual_fmamk_f32 v31, v12, 0x3d64c772, v7 :: v_dual_mul_f32 v12, v9, v42
	v_fma_f32 v15, 0x3f3bfb3b, v25, -v15
	v_fma_f32 v7, 0xbf3bfb3b, v26, -v7
	;; [unrolled: 1-line block ×4, first 2 shown]
	v_fmac_f32_e32 v12, v8, v3
	v_fmamk_f32 v26, v5, 0xbeae86e6, v28
	v_fma_f32 v5, 0x3eae86e6, v5, -v30
	v_fmac_f32_e32 v1, 0xbee1c552, v4
	v_add_f32_e32 v15, v15, v6
	v_add_f32_e32 v2, v2, v6
	v_fmac_f32_e32 v26, 0xbee1c552, v4
	v_dual_fmac_f32 v5, 0xbee1c552, v4 :: v_dual_mul_f32 v4, v8, v42
	v_fmamk_f32 v25, v23, 0xbeae86e6, v27
	v_fma_f32 v14, 0xbf5ff5aa, v14, -v27
	v_fma_f32 v23, 0x3eae86e6, v23, -v29
	s_delay_alu instid0(VALU_DEP_3) | instskip(NEXT) | instid1(VALU_DEP_3)
	v_fmac_f32_e32 v25, 0xbee1c552, v10
	v_fmac_f32_e32 v14, 0xbee1c552, v10
	s_delay_alu instid0(VALU_DEP_3) | instskip(SKIP_4) | instid1(VALU_DEP_3)
	v_fmac_f32_e32 v23, 0xbee1c552, v10
	v_add_f32_e32 v10, v11, v6
	v_add_f32_e32 v11, v31, v13
	;; [unrolled: 1-line block ×3, first 2 shown]
	v_fma_f32 v13, v9, v3, -v4
	v_sub_f32_e32 v7, v11, v25
	v_add_f32_e32 v29, v14, v24
	s_delay_alu instid0(VALU_DEP_4) | instskip(SKIP_3) | instid1(VALU_DEP_4)
	v_dual_sub_f32 v27, v6, v23 :: v_dual_sub_f32 v14, v24, v14
	v_add_f32_e32 v23, v23, v6
	v_dual_sub_f32 v28, v15, v1 :: v_dual_add_f32 v3, v26, v10
	v_dual_sub_f32 v24, v10, v26 :: v_dual_add_f32 v25, v25, v11
	v_mul_f32_e32 v6, v14, v44
	s_delay_alu instid0(VALU_DEP_4) | instskip(SKIP_3) | instid1(VALU_DEP_3)
	v_mul_f32_e32 v8, v23, v41
	v_mul_f32_e32 v4, v29, v48
	v_dual_add_f32 v9, v5, v2 :: v_dual_mul_f32 v10, v7, v0
	v_mul_f32_e32 v30, v28, v48
	v_fmac_f32_e32 v4, v28, v40
	s_delay_alu instid0(VALU_DEP_3)
	v_mul_f32_e32 v26, v9, v53
	v_add_f32_e32 v1, v1, v15
	v_sub_f32_e32 v15, v2, v5
	v_mul_f32_e32 v5, v3, v0
	v_mul_f32_e32 v2, v27, v53
	;; [unrolled: 1-line block ×3, first 2 shown]
	v_fmac_f32_e32 v6, v1, v37
	v_dual_mul_f32 v31, v1, v44 :: v_dual_mul_f32 v32, v15, v41
	s_delay_alu instid0(VALU_DEP_4)
	v_dual_mul_f32 v33, v24, v51 :: v_dual_fmac_f32 v2, v9, v36
	v_fmac_f32_e32 v10, v3, v35
	v_fma_f32 v11, v7, v35, -v5
	v_fma_f32 v3, v27, v36, -v26
	;; [unrolled: 1-line block ×4, first 2 shown]
	v_fmac_f32_e32 v8, v15, v38
	v_fma_f32 v9, v23, v38, -v32
	v_fmac_f32_e32 v0, v24, v39
	v_fma_f32 v1, v25, v39, -v33
	v_add_nc_u32_e32 v14, 0xf0, v19
	s_wait_alu 0xfffe
	s_and_saveexec_b32 s6, s1
	s_cbranch_execz .LBB0_38
; %bb.37:
	v_mad_co_u64_u32 v[23:24], null, s14, v20, 0
	v_mad_co_u64_u32 v[25:26], null, s12, v19, 0
	;; [unrolled: 1-line block ×3, first 2 shown]
	s_lshl_b64 s[8:9], s[2:3], 3
	v_mad_co_u64_u32 v[36:37], null, s12, v18, 0
	s_delay_alu instid0(VALU_DEP_3) | instskip(SKIP_2) | instid1(VALU_DEP_1)
	v_dual_mov_b32 v15, v24 :: v_dual_mov_b32 v24, v26
	s_wait_alu 0xfffe
	s_add_nc_u64 s[8:9], s[4:5], s[8:9]
	v_mad_co_u64_u32 v[29:30], null, s15, v20, v[15:16]
	s_delay_alu instid0(VALU_DEP_2) | instskip(SKIP_2) | instid1(VALU_DEP_4)
	v_mad_co_u64_u32 v[32:33], null, s13, v19, v[24:25]
	v_mov_b32_e32 v15, v28
	v_mad_co_u64_u32 v[30:31], null, s12, v21, 0
	v_mov_b32_e32 v24, v29
	s_delay_alu instid0(VALU_DEP_3) | instskip(SKIP_4) | instid1(VALU_DEP_4)
	v_mad_co_u64_u32 v[33:34], null, s13, v22, v[15:16]
	v_mov_b32_e32 v26, v32
	v_mad_co_u64_u32 v[34:35], null, s12, v17, 0
	v_mov_b32_e32 v15, v31
	v_lshlrev_b64_e32 v[23:24], 3, v[23:24]
	v_lshlrev_b64_e32 v[25:26], 3, v[25:26]
	v_mov_b32_e32 v28, v33
	s_wait_alu 0xfffe
	s_delay_alu instid0(VALU_DEP_3) | instskip(SKIP_2) | instid1(VALU_DEP_2)
	v_add_co_u32 v39, s1, s8, v23
	s_wait_alu 0xf1ff
	v_add_co_ci_u32_e64 v40, s1, s9, v24, s1
	v_add_co_u32 v25, s1, v39, v25
	s_wait_alu 0xf1ff
	s_delay_alu instid0(VALU_DEP_2)
	v_add_co_ci_u32_e64 v26, s1, v40, v26, s1
	global_store_b64 v[25:26], v[12:13], off
	v_mad_co_u64_u32 v[25:26], null, s13, v21, v[15:16]
	v_mov_b32_e32 v15, v35
	v_lshlrev_b64_e32 v[23:24], 3, v[27:28]
	v_mad_co_u64_u32 v[27:28], null, s12, v16, 0
	v_mov_b32_e32 v26, v37
	s_delay_alu instid0(VALU_DEP_4) | instskip(SKIP_2) | instid1(VALU_DEP_4)
	v_mad_co_u64_u32 v[32:33], null, s13, v17, v[15:16]
	v_mov_b32_e32 v31, v25
	v_add_co_u32 v23, s1, v39, v23
	v_mad_co_u64_u32 v[37:38], null, s13, v18, v[26:27]
	v_mad_co_u64_u32 v[25:26], null, s12, v14, 0
	v_mov_b32_e32 v15, v28
	s_wait_alu 0xf1ff
	v_add_co_ci_u32_e64 v24, s1, v40, v24, s1
	v_mov_b32_e32 v35, v32
	s_delay_alu instid0(VALU_DEP_3)
	v_mad_co_u64_u32 v[28:29], null, s13, v16, v[15:16]
	v_mov_b32_e32 v15, v26
	global_store_b64 v[23:24], v[10:11], off
	v_lshlrev_b64_e32 v[23:24], 3, v[30:31]
	v_lshlrev_b64_e32 v[29:30], 3, v[34:35]
	v_mad_co_u64_u32 v[31:32], null, s13, v14, v[15:16]
	v_lshlrev_b64_e32 v[32:33], 3, v[36:37]
	s_delay_alu instid0(VALU_DEP_4)
	v_add_co_u32 v23, s1, v39, v23
	s_wait_alu 0xf1ff
	v_add_co_ci_u32_e64 v24, s1, v40, v24, s1
	v_add_co_u32 v29, s1, v39, v29
	v_mov_b32_e32 v26, v31
	v_lshlrev_b64_e32 v[27:28], 3, v[27:28]
	s_wait_alu 0xf1ff
	v_add_co_ci_u32_e64 v30, s1, v40, v30, s1
	v_add_co_u32 v31, s1, v39, v32
	v_lshlrev_b64_e32 v[25:26], 3, v[25:26]
	s_wait_alu 0xf1ff
	v_add_co_ci_u32_e64 v32, s1, v40, v33, s1
	v_add_co_u32 v27, s1, v39, v27
	s_wait_alu 0xf1ff
	v_add_co_ci_u32_e64 v28, s1, v40, v28, s1
	v_add_co_u32 v25, s1, v39, v25
	s_wait_alu 0xf1ff
	v_add_co_ci_u32_e64 v26, s1, v40, v26, s1
	s_clause 0x4
	global_store_b64 v[23:24], v[2:3], off
	global_store_b64 v[29:30], v[4:5], off
	;; [unrolled: 1-line block ×5, first 2 shown]
.LBB0_38:
	s_wait_alu 0xfffe
	s_or_b32 exec_lo, exec_lo, s6
	s_xor_b32 s1, s10, -1
	s_and_b32 s0, s0, vcc_lo
	s_wait_alu 0xfffe
	s_and_b32 s0, s1, s0
	s_wait_alu 0xfffe
	s_and_saveexec_b32 s1, s0
	s_cbranch_execz .LBB0_40
; %bb.39:
	v_mad_co_u64_u32 v[23:24], null, s14, v20, 0
	v_mad_co_u64_u32 v[25:26], null, s12, v19, 0
	;; [unrolled: 1-line block ×3, first 2 shown]
	s_lshl_b64 s[0:1], s[2:3], 3
	v_mad_co_u64_u32 v[35:36], null, s12, v18, 0
	s_delay_alu instid0(VALU_DEP_3) | instskip(SKIP_2) | instid1(VALU_DEP_1)
	v_dual_mov_b32 v15, v24 :: v_dual_mov_b32 v24, v26
	s_wait_alu 0xfffe
	s_add_nc_u64 s[0:1], s[4:5], s[0:1]
	v_mad_co_u64_u32 v[29:30], null, s15, v20, v[15:16]
	s_delay_alu instid0(VALU_DEP_2) | instskip(SKIP_2) | instid1(VALU_DEP_4)
	v_mad_co_u64_u32 v[19:20], null, s13, v19, v[24:25]
	v_mov_b32_e32 v15, v28
	v_mad_co_u64_u32 v[30:31], null, s12, v21, 0
	v_mov_b32_e32 v24, v29
	s_delay_alu instid0(VALU_DEP_3) | instskip(SKIP_4) | instid1(VALU_DEP_4)
	v_mad_co_u64_u32 v[32:33], null, s13, v22, v[15:16]
	v_mov_b32_e32 v26, v19
	v_mad_co_u64_u32 v[33:34], null, s12, v17, 0
	v_mov_b32_e32 v15, v31
	v_lshlrev_b64_e32 v[19:20], 3, v[23:24]
	v_lshlrev_b64_e32 v[22:23], 3, v[25:26]
	v_mov_b32_e32 v28, v32
	s_wait_alu 0xfffe
	s_delay_alu instid0(VALU_DEP_3) | instskip(SKIP_2) | instid1(VALU_DEP_2)
	v_add_co_u32 v25, vcc_lo, s0, v19
	s_wait_alu 0xfffd
	v_add_co_ci_u32_e32 v26, vcc_lo, s1, v20, vcc_lo
	v_add_co_u32 v22, vcc_lo, v25, v22
	s_wait_alu 0xfffd
	s_delay_alu instid0(VALU_DEP_2)
	v_add_co_ci_u32_e32 v23, vcc_lo, v26, v23, vcc_lo
	global_store_b64 v[22:23], v[12:13], off
	v_mad_co_u64_u32 v[12:13], null, s13, v21, v[15:16]
	v_mov_b32_e32 v13, v34
	v_lshlrev_b64_e32 v[19:20], 3, v[27:28]
	v_mad_co_u64_u32 v[21:22], null, s12, v16, 0
	v_mov_b32_e32 v15, v36
	s_delay_alu instid0(VALU_DEP_4) | instskip(NEXT) | instid1(VALU_DEP_4)
	v_mad_co_u64_u32 v[23:24], null, s13, v17, v[13:14]
	v_add_co_u32 v19, vcc_lo, v25, v19
	s_wait_alu 0xfffd
	v_add_co_ci_u32_e32 v20, vcc_lo, v26, v20, vcc_lo
	v_mov_b32_e32 v31, v12
	v_mad_co_u64_u32 v[12:13], null, s12, v14, 0
	v_mov_b32_e32 v34, v23
	global_store_b64 v[19:20], v[10:11], off
	v_mov_b32_e32 v10, v22
	v_mad_co_u64_u32 v[17:18], null, s13, v18, v[15:16]
	v_lshlrev_b64_e32 v[18:19], 3, v[30:31]
	s_delay_alu instid0(VALU_DEP_3) | instskip(NEXT) | instid1(VALU_DEP_3)
	v_mad_co_u64_u32 v[10:11], null, s13, v16, v[10:11]
	v_dual_mov_b32 v11, v13 :: v_dual_mov_b32 v36, v17
	s_delay_alu instid0(VALU_DEP_3) | instskip(SKIP_1) | instid1(VALU_DEP_3)
	v_add_co_u32 v15, vcc_lo, v25, v18
	v_lshlrev_b64_e32 v[17:18], 3, v[33:34]
	v_mad_co_u64_u32 v[13:14], null, s13, v14, v[11:12]
	v_mov_b32_e32 v22, v10
	s_wait_alu 0xfffd
	v_add_co_ci_u32_e32 v16, vcc_lo, v26, v19, vcc_lo
	v_lshlrev_b64_e32 v[19:20], 3, v[35:36]
	v_add_co_u32 v10, vcc_lo, v25, v17
	s_wait_alu 0xfffd
	v_add_co_ci_u32_e32 v11, vcc_lo, v26, v18, vcc_lo
	v_lshlrev_b64_e32 v[17:18], 3, v[21:22]
	s_delay_alu instid0(VALU_DEP_4) | instskip(SKIP_3) | instid1(VALU_DEP_4)
	v_add_co_u32 v19, vcc_lo, v25, v19
	v_lshlrev_b64_e32 v[12:13], 3, v[12:13]
	s_wait_alu 0xfffd
	v_add_co_ci_u32_e32 v20, vcc_lo, v26, v20, vcc_lo
	v_add_co_u32 v17, vcc_lo, v25, v17
	s_wait_alu 0xfffd
	v_add_co_ci_u32_e32 v18, vcc_lo, v26, v18, vcc_lo
	v_add_co_u32 v12, vcc_lo, v25, v12
	s_wait_alu 0xfffd
	v_add_co_ci_u32_e32 v13, vcc_lo, v26, v13, vcc_lo
	s_clause 0x4
	global_store_b64 v[15:16], v[2:3], off
	global_store_b64 v[10:11], v[4:5], off
	;; [unrolled: 1-line block ×5, first 2 shown]
.LBB0_40:
	s_nop 0
	s_sendmsg sendmsg(MSG_DEALLOC_VGPRS)
	s_endpgm
	.section	.rodata,"a",@progbits
	.p2align	6, 0x0
	.amdhsa_kernel fft_rtc_back_len280_factors_8_5_7_wgs_392_tpt_56_sp_op_CI_CI_sbcc_twdbase5_3step_dirReg_intrinsicRead
		.amdhsa_group_segment_fixed_size 0
		.amdhsa_private_segment_fixed_size 0
		.amdhsa_kernarg_size 112
		.amdhsa_user_sgpr_count 2
		.amdhsa_user_sgpr_dispatch_ptr 0
		.amdhsa_user_sgpr_queue_ptr 0
		.amdhsa_user_sgpr_kernarg_segment_ptr 1
		.amdhsa_user_sgpr_dispatch_id 0
		.amdhsa_user_sgpr_private_segment_size 0
		.amdhsa_wavefront_size32 1
		.amdhsa_uses_dynamic_stack 0
		.amdhsa_enable_private_segment 0
		.amdhsa_system_sgpr_workgroup_id_x 1
		.amdhsa_system_sgpr_workgroup_id_y 0
		.amdhsa_system_sgpr_workgroup_id_z 0
		.amdhsa_system_sgpr_workgroup_info 0
		.amdhsa_system_vgpr_workitem_id 0
		.amdhsa_next_free_vgpr 78
		.amdhsa_next_free_sgpr 60
		.amdhsa_reserve_vcc 1
		.amdhsa_float_round_mode_32 0
		.amdhsa_float_round_mode_16_64 0
		.amdhsa_float_denorm_mode_32 3
		.amdhsa_float_denorm_mode_16_64 3
		.amdhsa_fp16_overflow 0
		.amdhsa_workgroup_processor_mode 1
		.amdhsa_memory_ordered 1
		.amdhsa_forward_progress 0
		.amdhsa_round_robin_scheduling 0
		.amdhsa_exception_fp_ieee_invalid_op 0
		.amdhsa_exception_fp_denorm_src 0
		.amdhsa_exception_fp_ieee_div_zero 0
		.amdhsa_exception_fp_ieee_overflow 0
		.amdhsa_exception_fp_ieee_underflow 0
		.amdhsa_exception_fp_ieee_inexact 0
		.amdhsa_exception_int_div_zero 0
	.end_amdhsa_kernel
	.text
.Lfunc_end0:
	.size	fft_rtc_back_len280_factors_8_5_7_wgs_392_tpt_56_sp_op_CI_CI_sbcc_twdbase5_3step_dirReg_intrinsicRead, .Lfunc_end0-fft_rtc_back_len280_factors_8_5_7_wgs_392_tpt_56_sp_op_CI_CI_sbcc_twdbase5_3step_dirReg_intrinsicRead
                                        ; -- End function
	.section	.AMDGPU.csdata,"",@progbits
; Kernel info:
; codeLenInByte = 6732
; NumSgprs: 62
; NumVgprs: 78
; ScratchSize: 0
; MemoryBound: 0
; FloatMode: 240
; IeeeMode: 1
; LDSByteSize: 0 bytes/workgroup (compile time only)
; SGPRBlocks: 7
; VGPRBlocks: 9
; NumSGPRsForWavesPerEU: 62
; NumVGPRsForWavesPerEU: 78
; Occupancy: 13
; WaveLimiterHint : 1
; COMPUTE_PGM_RSRC2:SCRATCH_EN: 0
; COMPUTE_PGM_RSRC2:USER_SGPR: 2
; COMPUTE_PGM_RSRC2:TRAP_HANDLER: 0
; COMPUTE_PGM_RSRC2:TGID_X_EN: 1
; COMPUTE_PGM_RSRC2:TGID_Y_EN: 0
; COMPUTE_PGM_RSRC2:TGID_Z_EN: 0
; COMPUTE_PGM_RSRC2:TIDIG_COMP_CNT: 0
	.text
	.p2alignl 7, 3214868480
	.fill 96, 4, 3214868480
	.type	__hip_cuid_e2d0779f2b69699f,@object ; @__hip_cuid_e2d0779f2b69699f
	.section	.bss,"aw",@nobits
	.globl	__hip_cuid_e2d0779f2b69699f
__hip_cuid_e2d0779f2b69699f:
	.byte	0                               ; 0x0
	.size	__hip_cuid_e2d0779f2b69699f, 1

	.ident	"AMD clang version 19.0.0git (https://github.com/RadeonOpenCompute/llvm-project roc-6.4.0 25133 c7fe45cf4b819c5991fe208aaa96edf142730f1d)"
	.section	".note.GNU-stack","",@progbits
	.addrsig
	.addrsig_sym __hip_cuid_e2d0779f2b69699f
	.amdgpu_metadata
---
amdhsa.kernels:
  - .args:
      - .actual_access:  read_only
        .address_space:  global
        .offset:         0
        .size:           8
        .value_kind:     global_buffer
      - .address_space:  global
        .offset:         8
        .size:           8
        .value_kind:     global_buffer
      - .offset:         16
        .size:           8
        .value_kind:     by_value
      - .actual_access:  read_only
        .address_space:  global
        .offset:         24
        .size:           8
        .value_kind:     global_buffer
      - .actual_access:  read_only
        .address_space:  global
        .offset:         32
        .size:           8
        .value_kind:     global_buffer
      - .actual_access:  read_only
        .address_space:  global
        .offset:         40
        .size:           8
        .value_kind:     global_buffer
      - .offset:         48
        .size:           8
        .value_kind:     by_value
      - .actual_access:  read_only
        .address_space:  global
        .offset:         56
        .size:           8
        .value_kind:     global_buffer
      - .actual_access:  read_only
        .address_space:  global
        .offset:         64
        .size:           8
        .value_kind:     global_buffer
      - .offset:         72
        .size:           4
        .value_kind:     by_value
      - .actual_access:  read_only
        .address_space:  global
        .offset:         80
        .size:           8
        .value_kind:     global_buffer
      - .actual_access:  read_only
        .address_space:  global
        .offset:         88
        .size:           8
        .value_kind:     global_buffer
      - .actual_access:  read_only
        .address_space:  global
        .offset:         96
        .size:           8
        .value_kind:     global_buffer
      - .actual_access:  write_only
        .address_space:  global
        .offset:         104
        .size:           8
        .value_kind:     global_buffer
    .group_segment_fixed_size: 0
    .kernarg_segment_align: 8
    .kernarg_segment_size: 112
    .language:       OpenCL C
    .language_version:
      - 2
      - 0
    .max_flat_workgroup_size: 392
    .name:           fft_rtc_back_len280_factors_8_5_7_wgs_392_tpt_56_sp_op_CI_CI_sbcc_twdbase5_3step_dirReg_intrinsicRead
    .private_segment_fixed_size: 0
    .sgpr_count:     62
    .sgpr_spill_count: 0
    .symbol:         fft_rtc_back_len280_factors_8_5_7_wgs_392_tpt_56_sp_op_CI_CI_sbcc_twdbase5_3step_dirReg_intrinsicRead.kd
    .uniform_work_group_size: 1
    .uses_dynamic_stack: false
    .vgpr_count:     78
    .vgpr_spill_count: 0
    .wavefront_size: 32
    .workgroup_processor_mode: 1
amdhsa.target:   amdgcn-amd-amdhsa--gfx1201
amdhsa.version:
  - 1
  - 2
...

	.end_amdgpu_metadata
